;; amdgpu-corpus repo=zjin-lcf/HeCBench kind=compiled arch=gfx906 opt=O3
	.amdgcn_target "amdgcn-amd-amdhsa--gfx906"
	.amdhsa_code_object_version 6
	.text
	.protected	_Z11MRCGradientiPKiPKfS2_S2_fPfS3_ ; -- Begin function _Z11MRCGradientiPKiPKfS2_S2_fPfS3_
	.globl	_Z11MRCGradientiPKiPKfS2_S2_fPfS3_
	.p2align	8
	.type	_Z11MRCGradientiPKiPKfS2_S2_fPfS3_,@function
_Z11MRCGradientiPKiPKfS2_S2_fPfS3_:     ; @_Z11MRCGradientiPKiPKfS2_S2_fPfS3_
; %bb.0:
	s_load_dword s0, s[4:5], 0x4c
	s_load_dword s1, s[4:5], 0x0
	s_waitcnt lgkmcnt(0)
	s_and_b32 s0, s0, 0xffff
	s_mul_i32 s6, s6, s0
	v_add_u32_e32 v0, s6, v0
	v_cmp_gt_i32_e32 vcc, s1, v0
	s_and_saveexec_b64 s[0:1], vcc
	s_cbranch_execz .LBB0_6
; %bb.1:
	s_load_dwordx8 s[8:15], s[4:5], 0x8
	v_ashrrev_i32_e32 v1, 31, v0
	v_lshlrev_b64 v[0:1], 2, v[0:1]
	s_load_dword s6, s[4:5], 0x28
	s_load_dwordx4 s[0:3], s[4:5], 0x30
	s_waitcnt lgkmcnt(0)
	v_mov_b32_e32 v3, s9
	v_add_co_u32_e32 v2, vcc, s8, v0
	v_addc_co_u32_e32 v3, vcc, v3, v1, vcc
	global_load_dword v2, v[2:3], off
	v_mov_b32_e32 v4, s11
	v_add_co_u32_e32 v3, vcc, s10, v0
	v_addc_co_u32_e32 v4, vcc, v4, v1, vcc
	global_load_dword v5, v[3:4], off
	;; [unrolled: 4-line block ×3, first 2 shown]
	s_waitcnt vmcnt(2)
	v_sub_u32_e32 v3, 0, v2
	v_cvt_f32_i32_e32 v3, v3
	s_waitcnt vmcnt(0)
	v_sub_f32_e32 v4, v5, v4
	v_fma_f32 v4, v4, v3, s6
	v_cmp_ngt_f32_e32 vcc, 0, v4
                                        ; implicit-def: $vgpr4
	s_and_saveexec_b64 s[4:5], vcc
	s_xor_b64 s[4:5], exec, s[4:5]
	s_cbranch_execz .LBB0_3
; %bb.2:
	v_mov_b32_e32 v5, s15
	v_add_co_u32_e32 v4, vcc, s14, v0
	v_addc_co_u32_e32 v5, vcc, v5, v1, vcc
	global_load_dword v6, v[4:5], off
	v_cvt_f32_i32_e32 v2, v2
	v_mov_b32_e32 v5, s1
	v_add_co_u32_e32 v4, vcc, s0, v0
	v_addc_co_u32_e32 v5, vcc, v5, v1, vcc
	s_waitcnt vmcnt(0)
	v_mul_f32_e32 v3, v6, v3
	global_store_dword v[4:5], v3, off
	v_mul_f32_e32 v4, v6, v2
.LBB0_3:
	s_or_saveexec_b64 s[4:5], s[4:5]
	v_mov_b32_e32 v2, s2
	v_mov_b32_e32 v3, s3
	s_xor_b64 exec, exec, s[4:5]
	s_cbranch_execz .LBB0_5
; %bb.4:
	v_mov_b32_e32 v3, s3
	v_add_co_u32_e32 v2, vcc, s2, v0
	v_addc_co_u32_e32 v3, vcc, v3, v1, vcc
	v_mov_b32_e32 v4, 0
	global_store_dword v[2:3], v4, off
	v_mov_b32_e32 v3, s1
	v_mov_b32_e32 v2, s0
.LBB0_5:
	s_or_b64 exec, exec, s[4:5]
	v_add_co_u32_e32 v0, vcc, v2, v0
	v_addc_co_u32_e32 v1, vcc, v3, v1, vcc
	global_store_dword v[0:1], v4, off
.LBB0_6:
	s_endpgm
	.section	.rodata,"a",@progbits
	.p2align	6, 0x0
	.amdhsa_kernel _Z11MRCGradientiPKiPKfS2_S2_fPfS3_
		.amdhsa_group_segment_fixed_size 0
		.amdhsa_private_segment_fixed_size 0
		.amdhsa_kernarg_size 320
		.amdhsa_user_sgpr_count 6
		.amdhsa_user_sgpr_private_segment_buffer 1
		.amdhsa_user_sgpr_dispatch_ptr 0
		.amdhsa_user_sgpr_queue_ptr 0
		.amdhsa_user_sgpr_kernarg_segment_ptr 1
		.amdhsa_user_sgpr_dispatch_id 0
		.amdhsa_user_sgpr_flat_scratch_init 0
		.amdhsa_user_sgpr_private_segment_size 0
		.amdhsa_uses_dynamic_stack 0
		.amdhsa_system_sgpr_private_segment_wavefront_offset 0
		.amdhsa_system_sgpr_workgroup_id_x 1
		.amdhsa_system_sgpr_workgroup_id_y 0
		.amdhsa_system_sgpr_workgroup_id_z 0
		.amdhsa_system_sgpr_workgroup_info 0
		.amdhsa_system_vgpr_workitem_id 0
		.amdhsa_next_free_vgpr 7
		.amdhsa_next_free_sgpr 16
		.amdhsa_reserve_vcc 1
		.amdhsa_reserve_flat_scratch 0
		.amdhsa_float_round_mode_32 0
		.amdhsa_float_round_mode_16_64 0
		.amdhsa_float_denorm_mode_32 3
		.amdhsa_float_denorm_mode_16_64 3
		.amdhsa_dx10_clamp 1
		.amdhsa_ieee_mode 1
		.amdhsa_fp16_overflow 0
		.amdhsa_exception_fp_ieee_invalid_op 0
		.amdhsa_exception_fp_denorm_src 0
		.amdhsa_exception_fp_ieee_div_zero 0
		.amdhsa_exception_fp_ieee_overflow 0
		.amdhsa_exception_fp_ieee_underflow 0
		.amdhsa_exception_fp_ieee_inexact 0
		.amdhsa_exception_int_div_zero 0
	.end_amdhsa_kernel
	.text
.Lfunc_end0:
	.size	_Z11MRCGradientiPKiPKfS2_S2_fPfS3_, .Lfunc_end0-_Z11MRCGradientiPKiPKfS2_S2_fPfS3_
                                        ; -- End function
	.set _Z11MRCGradientiPKiPKfS2_S2_fPfS3_.num_vgpr, 7
	.set _Z11MRCGradientiPKiPKfS2_S2_fPfS3_.num_agpr, 0
	.set _Z11MRCGradientiPKiPKfS2_S2_fPfS3_.numbered_sgpr, 16
	.set _Z11MRCGradientiPKiPKfS2_S2_fPfS3_.num_named_barrier, 0
	.set _Z11MRCGradientiPKiPKfS2_S2_fPfS3_.private_seg_size, 0
	.set _Z11MRCGradientiPKiPKfS2_S2_fPfS3_.uses_vcc, 1
	.set _Z11MRCGradientiPKiPKfS2_S2_fPfS3_.uses_flat_scratch, 0
	.set _Z11MRCGradientiPKiPKfS2_S2_fPfS3_.has_dyn_sized_stack, 0
	.set _Z11MRCGradientiPKiPKfS2_S2_fPfS3_.has_recursion, 0
	.set _Z11MRCGradientiPKiPKfS2_S2_fPfS3_.has_indirect_call, 0
	.section	.AMDGPU.csdata,"",@progbits
; Kernel info:
; codeLenInByte = 324
; TotalNumSgprs: 20
; NumVgprs: 7
; ScratchSize: 0
; MemoryBound: 0
; FloatMode: 240
; IeeeMode: 1
; LDSByteSize: 0 bytes/workgroup (compile time only)
; SGPRBlocks: 2
; VGPRBlocks: 1
; NumSGPRsForWavesPerEU: 20
; NumVGPRsForWavesPerEU: 7
; Occupancy: 10
; WaveLimiterHint : 0
; COMPUTE_PGM_RSRC2:SCRATCH_EN: 0
; COMPUTE_PGM_RSRC2:USER_SGPR: 6
; COMPUTE_PGM_RSRC2:TRAP_HANDLER: 0
; COMPUTE_PGM_RSRC2:TGID_X_EN: 1
; COMPUTE_PGM_RSRC2:TGID_Y_EN: 0
; COMPUTE_PGM_RSRC2:TGID_Z_EN: 0
; COMPUTE_PGM_RSRC2:TIDIG_COMP_CNT: 0
	.text
	.protected	_Z12MRCGradient2iPKiPKfS2_S2_fPfS3_ ; -- Begin function _Z12MRCGradient2iPKiPKfS2_S2_fPfS3_
	.globl	_Z12MRCGradient2iPKiPKfS2_S2_fPfS3_
	.p2align	8
	.type	_Z12MRCGradient2iPKiPKfS2_S2_fPfS3_,@function
_Z12MRCGradient2iPKiPKfS2_S2_fPfS3_:    ; @_Z12MRCGradient2iPKiPKfS2_S2_fPfS3_
; %bb.0:
	s_load_dword s0, s[4:5], 0x4c
	s_load_dword s1, s[4:5], 0x0
	s_waitcnt lgkmcnt(0)
	s_and_b32 s0, s0, 0xffff
	s_mul_i32 s6, s6, s0
	v_add_u32_e32 v0, s6, v0
	v_cmp_gt_i32_e32 vcc, s1, v0
	s_and_saveexec_b64 s[0:1], vcc
	s_cbranch_execz .LBB1_2
; %bb.1:
	s_load_dwordx8 s[8:15], s[4:5], 0x8
	v_ashrrev_i32_e32 v1, 31, v0
	v_lshlrev_b64 v[0:1], 2, v[0:1]
	s_waitcnt lgkmcnt(0)
	v_mov_b32_e32 v3, s9
	v_add_co_u32_e32 v2, vcc, s8, v0
	v_addc_co_u32_e32 v3, vcc, v3, v1, vcc
	global_load_dword v4, v[2:3], off
	v_mov_b32_e32 v3, s11
	v_add_co_u32_e32 v2, vcc, s10, v0
	v_addc_co_u32_e32 v3, vcc, v3, v1, vcc
	global_load_dword v6, v[2:3], off
	v_mov_b32_e32 v3, s13
	v_add_co_u32_e32 v2, vcc, s12, v0
	v_addc_co_u32_e32 v3, vcc, v3, v1, vcc
	v_mov_b32_e32 v5, s15
	global_load_dword v7, v[2:3], off
	v_add_co_u32_e32 v2, vcc, s14, v0
	v_addc_co_u32_e32 v3, vcc, v5, v1, vcc
	global_load_dword v5, v[2:3], off
	s_load_dwordx4 s[0:3], s[4:5], 0x30
	s_load_dword s6, s[4:5], 0x28
	s_waitcnt lgkmcnt(0)
	v_mov_b32_e32 v3, s1
	v_add_co_u32_e32 v2, vcc, s0, v0
	v_addc_co_u32_e32 v3, vcc, v3, v1, vcc
	v_mov_b32_e32 v8, s3
	s_waitcnt vmcnt(3)
	v_cvt_f32_i32_e32 v4, v4
	s_waitcnt vmcnt(1)
	v_sub_f32_e32 v6, v6, v7
	v_mul_f32_e32 v6, v6, v4
	v_cmp_lt_f32_e32 vcc, s6, v6
	s_waitcnt vmcnt(0)
	v_mul_f32_e64 v7, v5, -v4
	v_mul_f32_e32 v4, v5, v4
	v_cndmask_b32_e64 v5, v7, 0, vcc
	global_store_dword v[2:3], v5, off
	v_cndmask_b32_e64 v2, v4, 0, vcc
	v_add_co_u32_e32 v0, vcc, s2, v0
	v_addc_co_u32_e32 v1, vcc, v8, v1, vcc
	global_store_dword v[0:1], v2, off
.LBB1_2:
	s_endpgm
	.section	.rodata,"a",@progbits
	.p2align	6, 0x0
	.amdhsa_kernel _Z12MRCGradient2iPKiPKfS2_S2_fPfS3_
		.amdhsa_group_segment_fixed_size 0
		.amdhsa_private_segment_fixed_size 0
		.amdhsa_kernarg_size 320
		.amdhsa_user_sgpr_count 6
		.amdhsa_user_sgpr_private_segment_buffer 1
		.amdhsa_user_sgpr_dispatch_ptr 0
		.amdhsa_user_sgpr_queue_ptr 0
		.amdhsa_user_sgpr_kernarg_segment_ptr 1
		.amdhsa_user_sgpr_dispatch_id 0
		.amdhsa_user_sgpr_flat_scratch_init 0
		.amdhsa_user_sgpr_private_segment_size 0
		.amdhsa_uses_dynamic_stack 0
		.amdhsa_system_sgpr_private_segment_wavefront_offset 0
		.amdhsa_system_sgpr_workgroup_id_x 1
		.amdhsa_system_sgpr_workgroup_id_y 0
		.amdhsa_system_sgpr_workgroup_id_z 0
		.amdhsa_system_sgpr_workgroup_info 0
		.amdhsa_system_vgpr_workitem_id 0
		.amdhsa_next_free_vgpr 9
		.amdhsa_next_free_sgpr 16
		.amdhsa_reserve_vcc 1
		.amdhsa_reserve_flat_scratch 0
		.amdhsa_float_round_mode_32 0
		.amdhsa_float_round_mode_16_64 0
		.amdhsa_float_denorm_mode_32 3
		.amdhsa_float_denorm_mode_16_64 3
		.amdhsa_dx10_clamp 1
		.amdhsa_ieee_mode 1
		.amdhsa_fp16_overflow 0
		.amdhsa_exception_fp_ieee_invalid_op 0
		.amdhsa_exception_fp_denorm_src 0
		.amdhsa_exception_fp_ieee_div_zero 0
		.amdhsa_exception_fp_ieee_overflow 0
		.amdhsa_exception_fp_ieee_underflow 0
		.amdhsa_exception_fp_ieee_inexact 0
		.amdhsa_exception_int_div_zero 0
	.end_amdhsa_kernel
	.text
.Lfunc_end1:
	.size	_Z12MRCGradient2iPKiPKfS2_S2_fPfS3_, .Lfunc_end1-_Z12MRCGradient2iPKiPKfS2_S2_fPfS3_
                                        ; -- End function
	.set _Z12MRCGradient2iPKiPKfS2_S2_fPfS3_.num_vgpr, 9
	.set _Z12MRCGradient2iPKiPKfS2_S2_fPfS3_.num_agpr, 0
	.set _Z12MRCGradient2iPKiPKfS2_S2_fPfS3_.numbered_sgpr, 16
	.set _Z12MRCGradient2iPKiPKfS2_S2_fPfS3_.num_named_barrier, 0
	.set _Z12MRCGradient2iPKiPKfS2_S2_fPfS3_.private_seg_size, 0
	.set _Z12MRCGradient2iPKiPKfS2_S2_fPfS3_.uses_vcc, 1
	.set _Z12MRCGradient2iPKiPKfS2_S2_fPfS3_.uses_flat_scratch, 0
	.set _Z12MRCGradient2iPKiPKfS2_S2_fPfS3_.has_dyn_sized_stack, 0
	.set _Z12MRCGradient2iPKiPKfS2_S2_fPfS3_.has_recursion, 0
	.set _Z12MRCGradient2iPKiPKfS2_S2_fPfS3_.has_indirect_call, 0
	.section	.AMDGPU.csdata,"",@progbits
; Kernel info:
; codeLenInByte = 272
; TotalNumSgprs: 20
; NumVgprs: 9
; ScratchSize: 0
; MemoryBound: 0
; FloatMode: 240
; IeeeMode: 1
; LDSByteSize: 0 bytes/workgroup (compile time only)
; SGPRBlocks: 2
; VGPRBlocks: 2
; NumSGPRsForWavesPerEU: 20
; NumVGPRsForWavesPerEU: 9
; Occupancy: 10
; WaveLimiterHint : 0
; COMPUTE_PGM_RSRC2:SCRATCH_EN: 0
; COMPUTE_PGM_RSRC2:USER_SGPR: 6
; COMPUTE_PGM_RSRC2:TRAP_HANDLER: 0
; COMPUTE_PGM_RSRC2:TGID_X_EN: 1
; COMPUTE_PGM_RSRC2:TGID_Y_EN: 0
; COMPUTE_PGM_RSRC2:TGID_Z_EN: 0
; COMPUTE_PGM_RSRC2:TIDIG_COMP_CNT: 0
	.text
	.protected	_Z12MRCGradient3iPKiPKfS2_S2_fPfS3_ ; -- Begin function _Z12MRCGradient3iPKiPKfS2_S2_fPfS3_
	.globl	_Z12MRCGradient3iPKiPKfS2_S2_fPfS3_
	.p2align	8
	.type	_Z12MRCGradient3iPKiPKfS2_S2_fPfS3_,@function
_Z12MRCGradient3iPKiPKfS2_S2_fPfS3_:    ; @_Z12MRCGradient3iPKiPKfS2_S2_fPfS3_
; %bb.0:
	s_load_dword s0, s[4:5], 0x4c
	s_load_dword s20, s[4:5], 0x28
	s_load_dwordx4 s[16:19], s[4:5], 0x30
	s_load_dword s21, s[4:5], 0x0
	s_load_dwordx8 s[8:15], s[4:5], 0x8
	s_waitcnt lgkmcnt(0)
	s_and_b32 s22, s0, 0xffff
	s_mul_i32 s6, s6, s22
	v_add_u32_e32 v0, s6, v0
	s_ashr_i32 s0, s21, 31
	s_lshr_b32 s0, s0, 30
	s_add_i32 s0, s21, s0
	s_ashr_i32 s23, s0, 2
	v_cmp_gt_i32_e32 vcc, s23, v0
	s_and_saveexec_b64 s[6:7], vcc
	s_cbranch_execz .LBB2_2
; %bb.1:
	v_ashrrev_i32_e32 v1, 31, v0
	v_lshlrev_b64 v[13:14], 4, v[0:1]
	v_mov_b32_e32 v2, s11
	v_add_co_u32_e32 v1, vcc, s10, v13
	v_addc_co_u32_e32 v2, vcc, v2, v14, vcc
	v_mov_b32_e32 v6, s13
	v_add_co_u32_e32 v5, vcc, s12, v13
	v_addc_co_u32_e32 v6, vcc, v6, v14, vcc
	global_load_dwordx4 v[1:4], v[1:2], off
	v_mov_b32_e32 v10, s9
	global_load_dwordx4 v[5:8], v[5:6], off
	v_add_co_u32_e32 v9, vcc, s8, v13
	v_addc_co_u32_e32 v10, vcc, v10, v14, vcc
	global_load_dwordx4 v[9:12], v[9:10], off
	v_mov_b32_e32 v15, s15
	s_waitcnt vmcnt(1)
	v_sub_f32_e32 v5, v1, v5
	v_add_co_u32_e32 v1, vcc, s14, v13
	v_sub_f32_e32 v6, v2, v6
	v_addc_co_u32_e32 v2, vcc, v15, v14, vcc
	v_sub_f32_e32 v7, v3, v7
	v_sub_f32_e32 v8, v4, v8
	global_load_dwordx4 v[1:4], v[1:2], off
	s_waitcnt vmcnt(1)
	v_cvt_f32_i32_e32 v15, v9
	v_cvt_f32_i32_e32 v16, v10
	;; [unrolled: 1-line block ×4, first 2 shown]
	v_add_co_u32_e32 v9, vcc, s16, v13
	s_waitcnt vmcnt(0)
	v_mul_f32_e64 v17, v1, -v15
	v_mul_f32_e32 v18, v1, v15
	v_mov_b32_e32 v1, s17
	v_mul_f32_e64 v19, v2, -v16
	v_mul_f32_e32 v20, v2, v16
	v_mul_f32_e64 v21, v3, -v11
	v_mul_f32_e32 v22, v3, v11
	;; [unrolled: 2-line block ×3, first 2 shown]
	v_addc_co_u32_e32 v10, vcc, v1, v14, vcc
	v_fma_f32 v1, -v15, v5, s20
	v_fma_f32 v2, -v16, v6, s20
	;; [unrolled: 1-line block ×4, first 2 shown]
	v_cmp_gt_f32_e32 vcc, 0, v2
	v_cmp_gt_f32_e64 s[0:1], 0, v1
	v_cmp_gt_f32_e64 s[2:3], 0, v3
	;; [unrolled: 1-line block ×3, first 2 shown]
	v_cndmask_b32_e64 v1, v17, 0, s[0:1]
	v_cndmask_b32_e64 v2, v19, 0, vcc
	v_cndmask_b32_e64 v3, v21, 0, s[2:3]
	v_cndmask_b32_e64 v4, v23, 0, s[4:5]
	v_mov_b32_e32 v11, s19
	v_cndmask_b32_e64 v6, v20, 0, vcc
	global_store_dwordx4 v[9:10], v[1:4], off
	v_cndmask_b32_e64 v5, v18, 0, s[0:1]
	v_add_co_u32_e32 v1, vcc, s18, v13
	v_cndmask_b32_e64 v7, v22, 0, s[2:3]
	v_cndmask_b32_e64 v8, v24, 0, s[4:5]
	v_addc_co_u32_e32 v2, vcc, v11, v14, vcc
	global_store_dwordx4 v[1:2], v[5:8], off
.LBB2_2:
	s_or_b64 exec, exec, s[6:7]
	v_lshl_add_u32 v0, s23, 2, v0
	v_cmp_gt_i32_e32 vcc, s21, v0
	s_and_saveexec_b64 s[0:1], vcc
	s_cbranch_execz .LBB2_5
; %bb.3:
	s_mov_b64 s[2:3], 0
	v_mov_b32_e32 v2, s9
	v_mov_b32_e32 v3, s15
	;; [unrolled: 1-line block ×6, first 2 shown]
.LBB2_4:                                ; =>This Inner Loop Header: Depth=1
	v_ashrrev_i32_e32 v1, 31, v0
	v_lshlrev_b64 v[8:9], 2, v[0:1]
	v_add_u32_e32 v0, s22, v0
	v_add_co_u32_e32 v10, vcc, s8, v8
	v_addc_co_u32_e32 v11, vcc, v2, v9, vcc
	global_load_dword v1, v[10:11], off
	v_add_co_u32_e32 v10, vcc, s10, v8
	v_addc_co_u32_e32 v11, vcc, v4, v9, vcc
	global_load_dword v12, v[10:11], off
	;; [unrolled: 3-line block ×4, first 2 shown]
	v_add_co_u32_e64 v10, s[0:1], s16, v8
	v_addc_co_u32_e64 v11, s[0:1], v6, v9, s[0:1]
	v_add_co_u32_e64 v8, s[0:1], s18, v8
	v_addc_co_u32_e64 v9, s[0:1], v7, v9, s[0:1]
	v_cmp_le_i32_e32 vcc, s21, v0
	s_or_b64 s[2:3], vcc, s[2:3]
	s_waitcnt vmcnt(3)
	v_cvt_f32_i32_e32 v1, v1
	s_waitcnt vmcnt(1)
	v_sub_f32_e32 v12, v12, v13
	v_mul_f32_e32 v12, v12, v1
	v_cmp_lt_f32_e64 s[0:1], s20, v12
	s_waitcnt vmcnt(0)
	v_mul_f32_e64 v13, v14, -v1
	v_mul_f32_e32 v1, v14, v1
	v_cndmask_b32_e64 v12, v13, 0, s[0:1]
	v_cndmask_b32_e64 v1, v1, 0, s[0:1]
	global_store_dword v[10:11], v12, off
	global_store_dword v[8:9], v1, off
	s_andn2_b64 exec, exec, s[2:3]
	s_cbranch_execnz .LBB2_4
.LBB2_5:
	s_endpgm
	.section	.rodata,"a",@progbits
	.p2align	6, 0x0
	.amdhsa_kernel _Z12MRCGradient3iPKiPKfS2_S2_fPfS3_
		.amdhsa_group_segment_fixed_size 0
		.amdhsa_private_segment_fixed_size 0
		.amdhsa_kernarg_size 320
		.amdhsa_user_sgpr_count 6
		.amdhsa_user_sgpr_private_segment_buffer 1
		.amdhsa_user_sgpr_dispatch_ptr 0
		.amdhsa_user_sgpr_queue_ptr 0
		.amdhsa_user_sgpr_kernarg_segment_ptr 1
		.amdhsa_user_sgpr_dispatch_id 0
		.amdhsa_user_sgpr_flat_scratch_init 0
		.amdhsa_user_sgpr_private_segment_size 0
		.amdhsa_uses_dynamic_stack 0
		.amdhsa_system_sgpr_private_segment_wavefront_offset 0
		.amdhsa_system_sgpr_workgroup_id_x 1
		.amdhsa_system_sgpr_workgroup_id_y 0
		.amdhsa_system_sgpr_workgroup_id_z 0
		.amdhsa_system_sgpr_workgroup_info 0
		.amdhsa_system_vgpr_workitem_id 0
		.amdhsa_next_free_vgpr 25
		.amdhsa_next_free_sgpr 24
		.amdhsa_reserve_vcc 1
		.amdhsa_reserve_flat_scratch 0
		.amdhsa_float_round_mode_32 0
		.amdhsa_float_round_mode_16_64 0
		.amdhsa_float_denorm_mode_32 3
		.amdhsa_float_denorm_mode_16_64 3
		.amdhsa_dx10_clamp 1
		.amdhsa_ieee_mode 1
		.amdhsa_fp16_overflow 0
		.amdhsa_exception_fp_ieee_invalid_op 0
		.amdhsa_exception_fp_denorm_src 0
		.amdhsa_exception_fp_ieee_div_zero 0
		.amdhsa_exception_fp_ieee_overflow 0
		.amdhsa_exception_fp_ieee_underflow 0
		.amdhsa_exception_fp_ieee_inexact 0
		.amdhsa_exception_int_div_zero 0
	.end_amdhsa_kernel
	.text
.Lfunc_end2:
	.size	_Z12MRCGradient3iPKiPKfS2_S2_fPfS3_, .Lfunc_end2-_Z12MRCGradient3iPKiPKfS2_S2_fPfS3_
                                        ; -- End function
	.set _Z12MRCGradient3iPKiPKfS2_S2_fPfS3_.num_vgpr, 25
	.set _Z12MRCGradient3iPKiPKfS2_S2_fPfS3_.num_agpr, 0
	.set _Z12MRCGradient3iPKiPKfS2_S2_fPfS3_.numbered_sgpr, 24
	.set _Z12MRCGradient3iPKiPKfS2_S2_fPfS3_.num_named_barrier, 0
	.set _Z12MRCGradient3iPKiPKfS2_S2_fPfS3_.private_seg_size, 0
	.set _Z12MRCGradient3iPKiPKfS2_S2_fPfS3_.uses_vcc, 1
	.set _Z12MRCGradient3iPKiPKfS2_S2_fPfS3_.uses_flat_scratch, 0
	.set _Z12MRCGradient3iPKiPKfS2_S2_fPfS3_.has_dyn_sized_stack, 0
	.set _Z12MRCGradient3iPKiPKfS2_S2_fPfS3_.has_recursion, 0
	.set _Z12MRCGradient3iPKiPKfS2_S2_fPfS3_.has_indirect_call, 0
	.section	.AMDGPU.csdata,"",@progbits
; Kernel info:
; codeLenInByte = 696
; TotalNumSgprs: 28
; NumVgprs: 25
; ScratchSize: 0
; MemoryBound: 0
; FloatMode: 240
; IeeeMode: 1
; LDSByteSize: 0 bytes/workgroup (compile time only)
; SGPRBlocks: 3
; VGPRBlocks: 6
; NumSGPRsForWavesPerEU: 28
; NumVGPRsForWavesPerEU: 25
; Occupancy: 9
; WaveLimiterHint : 0
; COMPUTE_PGM_RSRC2:SCRATCH_EN: 0
; COMPUTE_PGM_RSRC2:USER_SGPR: 6
; COMPUTE_PGM_RSRC2:TRAP_HANDLER: 0
; COMPUTE_PGM_RSRC2:TGID_X_EN: 1
; COMPUTE_PGM_RSRC2:TGID_Y_EN: 0
; COMPUTE_PGM_RSRC2:TGID_Z_EN: 0
; COMPUTE_PGM_RSRC2:TIDIG_COMP_CNT: 0
	.section	.AMDGPU.gpr_maximums,"",@progbits
	.set amdgpu.max_num_vgpr, 0
	.set amdgpu.max_num_agpr, 0
	.set amdgpu.max_num_sgpr, 0
	.section	.AMDGPU.csdata,"",@progbits
	.type	__hip_cuid_c0c4d81e9eb68538,@object ; @__hip_cuid_c0c4d81e9eb68538
	.section	.bss,"aw",@nobits
	.globl	__hip_cuid_c0c4d81e9eb68538
__hip_cuid_c0c4d81e9eb68538:
	.byte	0                               ; 0x0
	.size	__hip_cuid_c0c4d81e9eb68538, 1

	.ident	"AMD clang version 22.0.0git (https://github.com/RadeonOpenCompute/llvm-project roc-7.2.4 26084 f58b06dce1f9c15707c5f808fd002e18c2accf7e)"
	.section	".note.GNU-stack","",@progbits
	.addrsig
	.addrsig_sym __hip_cuid_c0c4d81e9eb68538
	.amdgpu_metadata
---
amdhsa.kernels:
  - .args:
      - .offset:         0
        .size:           4
        .value_kind:     by_value
      - .address_space:  global
        .offset:         8
        .size:           8
        .value_kind:     global_buffer
      - .address_space:  global
        .offset:         16
        .size:           8
        .value_kind:     global_buffer
      - .address_space:  global
        .offset:         24
        .size:           8
        .value_kind:     global_buffer
      - .address_space:  global
        .offset:         32
        .size:           8
        .value_kind:     global_buffer
      - .offset:         40
        .size:           4
        .value_kind:     by_value
      - .actual_access:  write_only
        .address_space:  global
        .offset:         48
        .size:           8
        .value_kind:     global_buffer
      - .actual_access:  write_only
        .address_space:  global
        .offset:         56
        .size:           8
        .value_kind:     global_buffer
      - .offset:         64
        .size:           4
        .value_kind:     hidden_block_count_x
      - .offset:         68
        .size:           4
        .value_kind:     hidden_block_count_y
      - .offset:         72
        .size:           4
        .value_kind:     hidden_block_count_z
      - .offset:         76
        .size:           2
        .value_kind:     hidden_group_size_x
      - .offset:         78
        .size:           2
        .value_kind:     hidden_group_size_y
      - .offset:         80
        .size:           2
        .value_kind:     hidden_group_size_z
      - .offset:         82
        .size:           2
        .value_kind:     hidden_remainder_x
      - .offset:         84
        .size:           2
        .value_kind:     hidden_remainder_y
      - .offset:         86
        .size:           2
        .value_kind:     hidden_remainder_z
      - .offset:         104
        .size:           8
        .value_kind:     hidden_global_offset_x
      - .offset:         112
        .size:           8
        .value_kind:     hidden_global_offset_y
      - .offset:         120
        .size:           8
        .value_kind:     hidden_global_offset_z
      - .offset:         128
        .size:           2
        .value_kind:     hidden_grid_dims
    .group_segment_fixed_size: 0
    .kernarg_segment_align: 8
    .kernarg_segment_size: 320
    .language:       OpenCL C
    .language_version:
      - 2
      - 0
    .max_flat_workgroup_size: 1024
    .name:           _Z11MRCGradientiPKiPKfS2_S2_fPfS3_
    .private_segment_fixed_size: 0
    .sgpr_count:     20
    .sgpr_spill_count: 0
    .symbol:         _Z11MRCGradientiPKiPKfS2_S2_fPfS3_.kd
    .uniform_work_group_size: 1
    .uses_dynamic_stack: false
    .vgpr_count:     7
    .vgpr_spill_count: 0
    .wavefront_size: 64
  - .args:
      - .offset:         0
        .size:           4
        .value_kind:     by_value
      - .address_space:  global
        .offset:         8
        .size:           8
        .value_kind:     global_buffer
      - .address_space:  global
        .offset:         16
        .size:           8
        .value_kind:     global_buffer
      - .address_space:  global
        .offset:         24
        .size:           8
        .value_kind:     global_buffer
      - .address_space:  global
        .offset:         32
        .size:           8
        .value_kind:     global_buffer
      - .offset:         40
        .size:           4
        .value_kind:     by_value
      - .actual_access:  write_only
        .address_space:  global
        .offset:         48
        .size:           8
        .value_kind:     global_buffer
      - .actual_access:  write_only
        .address_space:  global
        .offset:         56
        .size:           8
        .value_kind:     global_buffer
      - .offset:         64
        .size:           4
        .value_kind:     hidden_block_count_x
      - .offset:         68
        .size:           4
        .value_kind:     hidden_block_count_y
      - .offset:         72
        .size:           4
        .value_kind:     hidden_block_count_z
      - .offset:         76
        .size:           2
        .value_kind:     hidden_group_size_x
      - .offset:         78
        .size:           2
        .value_kind:     hidden_group_size_y
      - .offset:         80
        .size:           2
        .value_kind:     hidden_group_size_z
      - .offset:         82
        .size:           2
        .value_kind:     hidden_remainder_x
      - .offset:         84
        .size:           2
        .value_kind:     hidden_remainder_y
      - .offset:         86
        .size:           2
        .value_kind:     hidden_remainder_z
      - .offset:         104
        .size:           8
        .value_kind:     hidden_global_offset_x
      - .offset:         112
        .size:           8
        .value_kind:     hidden_global_offset_y
      - .offset:         120
        .size:           8
        .value_kind:     hidden_global_offset_z
      - .offset:         128
        .size:           2
        .value_kind:     hidden_grid_dims
    .group_segment_fixed_size: 0
    .kernarg_segment_align: 8
    .kernarg_segment_size: 320
    .language:       OpenCL C
    .language_version:
      - 2
      - 0
    .max_flat_workgroup_size: 1024
    .name:           _Z12MRCGradient2iPKiPKfS2_S2_fPfS3_
    .private_segment_fixed_size: 0
    .sgpr_count:     20
    .sgpr_spill_count: 0
    .symbol:         _Z12MRCGradient2iPKiPKfS2_S2_fPfS3_.kd
    .uniform_work_group_size: 1
    .uses_dynamic_stack: false
    .vgpr_count:     9
    .vgpr_spill_count: 0
    .wavefront_size: 64
  - .args:
      - .offset:         0
        .size:           4
        .value_kind:     by_value
      - .address_space:  global
        .offset:         8
        .size:           8
        .value_kind:     global_buffer
      - .address_space:  global
        .offset:         16
        .size:           8
        .value_kind:     global_buffer
      - .address_space:  global
        .offset:         24
        .size:           8
        .value_kind:     global_buffer
      - .address_space:  global
        .offset:         32
        .size:           8
        .value_kind:     global_buffer
      - .offset:         40
        .size:           4
        .value_kind:     by_value
      - .actual_access:  write_only
        .address_space:  global
        .offset:         48
        .size:           8
        .value_kind:     global_buffer
      - .actual_access:  write_only
        .address_space:  global
        .offset:         56
        .size:           8
        .value_kind:     global_buffer
      - .offset:         64
        .size:           4
        .value_kind:     hidden_block_count_x
      - .offset:         68
        .size:           4
        .value_kind:     hidden_block_count_y
      - .offset:         72
        .size:           4
        .value_kind:     hidden_block_count_z
      - .offset:         76
        .size:           2
        .value_kind:     hidden_group_size_x
      - .offset:         78
        .size:           2
        .value_kind:     hidden_group_size_y
      - .offset:         80
        .size:           2
        .value_kind:     hidden_group_size_z
      - .offset:         82
        .size:           2
        .value_kind:     hidden_remainder_x
      - .offset:         84
        .size:           2
        .value_kind:     hidden_remainder_y
      - .offset:         86
        .size:           2
        .value_kind:     hidden_remainder_z
      - .offset:         104
        .size:           8
        .value_kind:     hidden_global_offset_x
      - .offset:         112
        .size:           8
        .value_kind:     hidden_global_offset_y
      - .offset:         120
        .size:           8
        .value_kind:     hidden_global_offset_z
      - .offset:         128
        .size:           2
        .value_kind:     hidden_grid_dims
    .group_segment_fixed_size: 0
    .kernarg_segment_align: 8
    .kernarg_segment_size: 320
    .language:       OpenCL C
    .language_version:
      - 2
      - 0
    .max_flat_workgroup_size: 1024
    .name:           _Z12MRCGradient3iPKiPKfS2_S2_fPfS3_
    .private_segment_fixed_size: 0
    .sgpr_count:     28
    .sgpr_spill_count: 0
    .symbol:         _Z12MRCGradient3iPKiPKfS2_S2_fPfS3_.kd
    .uniform_work_group_size: 1
    .uses_dynamic_stack: false
    .vgpr_count:     25
    .vgpr_spill_count: 0
    .wavefront_size: 64
amdhsa.target:   amdgcn-amd-amdhsa--gfx906
amdhsa.version:
  - 1
  - 2
...

	.end_amdgpu_metadata
